;; amdgpu-corpus repo=ROCm/rocFFT kind=compiled arch=gfx1030 opt=O3
	.text
	.amdgcn_target "amdgcn-amd-amdhsa--gfx1030"
	.amdhsa_code_object_version 6
	.protected	bluestein_single_back_len784_dim1_sp_op_CI_CI ; -- Begin function bluestein_single_back_len784_dim1_sp_op_CI_CI
	.globl	bluestein_single_back_len784_dim1_sp_op_CI_CI
	.p2align	8
	.type	bluestein_single_back_len784_dim1_sp_op_CI_CI,@function
bluestein_single_back_len784_dim1_sp_op_CI_CI: ; @bluestein_single_back_len784_dim1_sp_op_CI_CI
; %bb.0:
	s_load_dwordx4 s[16:19], s[4:5], 0x28
	v_mul_u32_u24_e32 v1, 0x493, v0
	v_mov_b32_e32 v67, 0
	s_mov_b32 s0, exec_lo
	v_lshrrev_b32_e32 v1, 16, v1
	v_add_nc_u32_e32 v66, s6, v1
	s_waitcnt lgkmcnt(0)
	v_cmpx_gt_u64_e64 s[16:17], v[66:67]
	s_cbranch_execz .LBB0_2
; %bb.1:
	s_clause 0x1
	s_load_dwordx4 s[0:3], s[4:5], 0x18
	s_load_dwordx4 s[8:11], s[4:5], 0x0
	v_mul_lo_u16 v1, v1, 56
	v_sub_nc_u16 v0, v0, v1
	v_and_b32_e32 v67, 0xffff, v0
	v_lshlrev_b32_e32 v118, 3, v67
	v_or_b32_e32 v122, 0x1c0, v67
	v_and_b32_e32 v43, 1, v67
	s_waitcnt lgkmcnt(0)
	s_load_dwordx4 s[12:15], s[0:1], 0x0
	s_add_u32 s6, s8, 0x1880
	v_add_co_u32 v13, s0, s8, v118
	v_add_co_ci_u32_e64 v14, null, s9, 0, s0
	s_addc_u32 s7, s9, 0
	v_lshlrev_b32_e32 v48, 3, v122
	s_clause 0x4
	global_load_dwordx2 v[88:89], v118, s[8:9]
	global_load_dwordx2 v[86:87], v118, s[8:9] offset:448
	global_load_dwordx2 v[84:85], v118, s[8:9] offset:896
	;; [unrolled: 1-line block ×4, first 2 shown]
	v_add_nc_u32_e32 v121, 0x800, v118
	v_add_nc_u32_e32 v119, 0x1000, v118
	;; [unrolled: 1-line block ×3, first 2 shown]
	global_load_dwordx2 v[92:93], v48, s[8:9]
	v_lshlrev_b32_e32 v133, 4, v67
	v_lshlrev_b32_e32 v44, 3, v43
	v_mad_u64_u32 v[57:58], null, v67, 48, s[10:11]
	s_waitcnt lgkmcnt(0)
	v_mad_u64_u32 v[0:1], null, s14, v66, 0
	v_mad_u64_u32 v[2:3], null, s12, v67, 0
	s_mul_i32 s0, s13, 0xc40
	s_mul_hi_u32 s1, s12, 0xc40
	s_mul_i32 s14, s12, 0xc40
	s_add_i32 s1, s1, s0
	s_mul_hi_u32 s16, s12, 0xfffff580
	s_mul_i32 s17, s12, 0xfffff580
	v_mad_u64_u32 v[4:5], null, s15, v66, v[1:2]
	s_mul_i32 s15, s13, 0xfffff580
	s_sub_i32 s0, s16, s12
	s_add_i32 s0, s0, s15
	v_mad_u64_u32 v[5:6], null, s13, v67, v[3:4]
	v_mov_b32_e32 v1, v4
	v_lshlrev_b64 v[0:1], 3, v[0:1]
	v_mov_b32_e32 v3, v5
	v_mad_u64_u32 v[4:5], null, s12, v122, 0
	v_lshlrev_b64 v[2:3], 3, v[2:3]
	v_add_co_u32 v17, vcc_lo, s18, v0
	v_add_co_ci_u32_e32 v18, vcc_lo, s19, v1, vcc_lo
	v_add_co_u32 v0, vcc_lo, v17, v2
	v_add_co_ci_u32_e32 v1, vcc_lo, v18, v3, vcc_lo
	;; [unrolled: 2-line block ×4, first 2 shown]
	v_add_co_u32 v11, vcc_lo, 0x800, v13
	v_mad_u64_u32 v[8:9], null, s13, v122, v[5:6]
	v_mad_u64_u32 v[9:10], null, 0x1c0, s12, v[6:7]
	v_add_co_ci_u32_e32 v12, vcc_lo, 0, v14, vcc_lo
	v_add_co_u32 v13, vcc_lo, 0x1000, v13
	v_mov_b32_e32 v5, v8
	v_add_co_ci_u32_e32 v14, vcc_lo, 0, v14, vcc_lo
	v_mov_b32_e32 v8, v10
	s_clause 0x2
	global_load_dwordx2 v[94:95], v[11:12], off offset:1088
	global_load_dwordx2 v[96:97], v[11:12], off offset:1984
	global_load_dwordx2 v[98:99], v[11:12], off offset:192
	v_lshlrev_b64 v[4:5], 3, v[4:5]
	s_clause 0x2
	global_load_dwordx2 v[102:103], v[13:14], off offset:384
	global_load_dwordx2 v[100:101], v[13:14], off offset:832
	;; [unrolled: 1-line block ×3, first 2 shown]
	s_clause 0x1
	global_load_dwordx2 v[0:1], v[0:1], off
	global_load_dwordx2 v[2:3], v[2:3], off
	v_mad_u64_u32 v[15:16], null, 0x1c0, s13, v[8:9]
	v_add_co_u32 v4, vcc_lo, v17, v4
	v_add_co_ci_u32_e32 v5, vcc_lo, v18, v5, vcc_lo
	s_clause 0x1
	global_load_dwordx2 v[4:5], v[4:5], off
	global_load_dwordx2 v[6:7], v[6:7], off
	v_mov_b32_e32 v10, v15
	v_add_co_u32 v15, vcc_lo, v9, s14
	v_add_co_ci_u32_e32 v16, vcc_lo, s1, v10, vcc_lo
	v_add_co_u32 v17, vcc_lo, v15, s17
	global_load_dwordx2 v[8:9], v[9:10], off
	v_add_co_ci_u32_e32 v18, vcc_lo, s0, v16, vcc_lo
	global_load_dwordx2 v[15:16], v[15:16], off
	v_add_co_u32 v19, vcc_lo, v17, s14
	v_add_co_ci_u32_e32 v20, vcc_lo, s1, v18, vcc_lo
	global_load_dwordx2 v[17:18], v[17:18], off
	v_add_co_u32 v21, vcc_lo, v19, s17
	;; [unrolled: 3-line block ×7, first 2 shown]
	v_add_co_ci_u32_e32 v32, vcc_lo, s1, v30, vcc_lo
	global_load_dwordx2 v[106:107], v[11:12], off offset:640
	global_load_dwordx2 v[10:11], v[29:30], off
	global_load_dwordx2 v[108:109], v[13:14], off offset:1728
	global_load_dwordx2 v[12:13], v[31:32], off
	s_load_dwordx4 s[0:3], s[2:3], 0x0
	v_add_co_u32 v59, vcc_lo, 0x800, v57
	v_add_co_ci_u32_e32 v60, vcc_lo, 0, v58, vcc_lo
	s_waitcnt lgkmcnt(0)
	s_mul_hi_u32 s9, s0, 0xfffff580
	s_sub_i32 s9, s9, s0
	s_waitcnt vmcnt(15)
	v_mul_f32_e32 v29, v1, v89
	v_mul_f32_e32 v14, v0, v89
	s_waitcnt vmcnt(14)
	v_mul_f32_e32 v33, v3, v95
	v_mul_f32_e32 v34, v2, v95
	v_fmac_f32_e32 v29, v0, v88
	v_fma_f32 v30, v1, v88, -v14
	v_fmac_f32_e32 v33, v2, v94
	v_fma_f32 v34, v3, v94, -v34
	s_waitcnt vmcnt(13)
	v_mul_f32_e32 v31, v5, v93
	s_waitcnt vmcnt(12)
	v_mul_f32_e32 v0, v7, v87
	v_mul_f32_e32 v1, v6, v87
	;; [unrolled: 1-line block ×3, first 2 shown]
	ds_write_b64 v118, v[33:34] offset:3136
	v_fmac_f32_e32 v31, v4, v92
	v_fmac_f32_e32 v0, v6, v86
	v_fma_f32 v1, v7, v86, -v1
	v_fma_f32 v32, v5, v92, -v32
	ds_write2_b64 v118, v[29:30], v[0:1] offset1:56
	s_waitcnt vmcnt(11)
	v_mul_f32_e32 v0, v9, v85
	s_waitcnt vmcnt(10)
	v_mul_f32_e32 v2, v16, v97
	v_mul_f32_e32 v3, v15, v97
	;; [unrolled: 1-line block ×3, first 2 shown]
	v_fmac_f32_e32 v0, v8, v84
	v_fmac_f32_e32 v2, v15, v96
	v_fma_f32 v3, v16, v96, -v3
	s_waitcnt vmcnt(9)
	v_mul_f32_e32 v5, v17, v83
	v_mul_f32_e32 v4, v18, v83
	v_fma_f32 v1, v9, v84, -v1
	ds_write2_b64 v121, v[31:32], v[2:3] offset0:192 offset1:248
	s_waitcnt vmcnt(8)
	v_mul_f32_e32 v2, v20, v103
	v_mul_f32_e32 v3, v19, v103
	v_fma_f32 v5, v18, v82, -v5
	s_waitcnt vmcnt(7)
	v_mul_f32_e32 v6, v22, v91
	v_mul_f32_e32 v7, v21, v91
	v_fmac_f32_e32 v2, v19, v102
	v_fmac_f32_e32 v4, v17, v82
	v_fma_f32 v3, v20, v102, -v3
	s_waitcnt vmcnt(6)
	v_mul_f32_e32 v8, v24, v101
	v_mul_f32_e32 v9, v23, v101
	v_fmac_f32_e32 v6, v21, v90
	v_fma_f32 v7, v22, v90, -v7
	s_waitcnt vmcnt(5)
	v_mul_f32_e32 v14, v26, v99
	v_mul_f32_e32 v15, v25, v99
	;; [unrolled: 5-line block ×3, first 2 shown]
	v_fmac_f32_e32 v14, v25, v98
	s_waitcnt vmcnt(2)
	v_mul_f32_e32 v18, v11, v107
	v_mul_f32_e32 v19, v10, v107
	s_waitcnt vmcnt(0)
	v_mul_f32_e32 v20, v13, v109
	v_mul_f32_e32 v21, v12, v109
	v_fma_f32 v15, v26, v98, -v15
	v_fmac_f32_e32 v18, v10, v106
	v_fma_f32 v19, v11, v106, -v19
	v_fmac_f32_e32 v16, v27, v104
	;; [unrolled: 2-line block ×3, first 2 shown]
	v_fma_f32 v21, v13, v108, -v21
	ds_write2_b64 v118, v[0:1], v[4:5] offset0:112 offset1:168
	ds_write2_b64 v119, v[2:3], v[8:9] offset0:48 offset1:104
	;; [unrolled: 1-line block ×3, first 2 shown]
	ds_write_b64 v118, v[18:19] offset:2688
	ds_write2_b64 v119, v[16:17], v[20:21] offset0:160 offset1:216
	s_waitcnt lgkmcnt(0)
	s_barrier
	buffer_gl0_inv
	ds_read2_b64 v[1:4], v118 offset1:56
	ds_read2_b64 v[5:8], v121 offset0:80 offset1:136
	ds_read2_b64 v[9:12], v121 offset0:192 offset1:248
	;; [unrolled: 1-line block ×6, first 2 shown]
	v_lshlrev_b32_e32 v0, 1, v67
	s_waitcnt lgkmcnt(0)
	s_barrier
	buffer_gl0_inv
	v_lshlrev_b32_e32 v132, 3, v0
	v_sub_f32_e32 v29, v1, v7
	v_sub_f32_e32 v30, v2, v8
	;; [unrolled: 1-line block ×14, first 2 shown]
	v_fma_f32 v27, v1, 2.0, -v29
	v_fma_f32 v28, v2, 2.0, -v30
	;; [unrolled: 1-line block ×14, first 2 shown]
	ds_write_b128 v133, v[27:30]
	ds_write_b128 v133, v[7:10] offset:896
	ds_write_b128 v132, v[31:34] offset:1792
	;; [unrolled: 1-line block ×6, first 2 shown]
	s_waitcnt lgkmcnt(0)
	s_barrier
	buffer_gl0_inv
	global_load_dwordx2 v[112:113], v44, s[10:11]
	v_add_nc_u32_e32 v24, 56, v67
	v_add_nc_u32_e32 v2, 0xe0, v0
	;; [unrolled: 1-line block ×3, first 2 shown]
	v_and_or_b32 v7, 0x7c, v0, v43
	v_add_nc_u32_e32 v6, 0x1c0, v0
	v_lshlrev_b32_e32 v1, 1, v24
	v_and_or_b32 v20, 0x1fc, v2, v43
	v_and_or_b32 v21, 0x1fc, v3, v43
	v_lshlrev_b32_e32 v134, 3, v7
	ds_read2_b64 v[7:10], v121 offset0:80 offset1:136
	ds_read2_b64 v[11:14], v121 offset0:192 offset1:248
	v_and_or_b32 v19, 0xfc, v1, v43
	v_add_nc_u32_e32 v4, 0x230, v0
	v_add_nc_u32_e32 v5, 0x2a0, v0
	ds_read2_b64 v[15:18], v119 offset0:48 offset1:104
	v_lshlrev_b32_e32 v136, 3, v20
	v_lshlrev_b32_e32 v135, 3, v19
	;; [unrolled: 1-line block ×3, first 2 shown]
	ds_read2_b64 v[19:22], v119 offset0:160 offset1:216
	v_and_or_b32 v25, 0x3fc, v6, v43
	v_and_or_b32 v26, 0x2fc, v4, v43
	;; [unrolled: 1-line block ×3, first 2 shown]
	v_and_b32_e32 v23, 3, v67
	v_lshlrev_b32_e32 v138, 3, v25
	v_lshlrev_b32_e32 v139, 3, v26
	;; [unrolled: 1-line block ×3, first 2 shown]
	ds_read2_b64 v[25:28], v118 offset1:56
	ds_read2_b64 v[29:32], v118 offset0:112 offset1:168
	ds_read2_b64 v[33:36], v120 offset0:96 offset1:152
	v_lshlrev_b32_e32 v37, 3, v23
	s_waitcnt vmcnt(0) lgkmcnt(0)
	s_barrier
	buffer_gl0_inv
	v_mul_f32_e32 v38, v10, v113
	v_mul_f32_e32 v47, v9, v113
	;; [unrolled: 1-line block ×14, first 2 shown]
	v_fma_f32 v9, v9, v112, -v38
	v_fmac_f32_e32 v47, v10, v112
	v_fma_f32 v11, v11, v112, -v39
	v_fmac_f32_e32 v40, v12, v112
	;; [unrolled: 2-line block ×7, first 2 shown]
	v_sub_f32_e32 v9, v25, v9
	v_sub_f32_e32 v10, v26, v47
	;; [unrolled: 1-line block ×14, first 2 shown]
	v_fma_f32 v25, v25, 2.0, -v9
	v_fma_f32 v26, v26, 2.0, -v10
	;; [unrolled: 1-line block ×14, first 2 shown]
	ds_write2_b64 v134, v[25:26], v[9:10] offset1:2
	ds_write2_b64 v135, v[27:28], v[11:12] offset1:2
	ds_write2_b64 v136, v[29:30], v[13:14] offset1:2
	ds_write2_b64 v137, v[31:32], v[15:16] offset1:2
	ds_write2_b64 v138, v[33:34], v[17:18] offset1:2
	ds_write2_b64 v139, v[35:36], v[19:20] offset1:2
	ds_write2_b64 v140, v[7:8], v[21:22] offset1:2
	s_waitcnt lgkmcnt(0)
	s_barrier
	buffer_gl0_inv
	global_load_dwordx2 v[114:115], v37, s[10:11] offset:16
	v_and_or_b32 v7, 0x78, v0, v23
	v_and_or_b32 v19, 0xf8, v1, v23
	;; [unrolled: 1-line block ×4, first 2 shown]
	ds_read2_b64 v[11:14], v121 offset0:192 offset1:248
	v_lshlrev_b32_e32 v141, 3, v7
	ds_read2_b64 v[7:10], v121 offset0:80 offset1:136
	ds_read2_b64 v[15:18], v119 offset0:48 offset1:104
	v_lshlrev_b32_e32 v142, 3, v19
	v_lshlrev_b32_e32 v143, 3, v20
	;; [unrolled: 1-line block ×3, first 2 shown]
	ds_read2_b64 v[19:22], v119 offset0:160 offset1:216
	v_and_or_b32 v25, 0x3f8, v6, v23
	v_and_or_b32 v26, 0x2f8, v4, v23
	;; [unrolled: 1-line block ×3, first 2 shown]
	v_and_b32_e32 v37, 7, v67
	v_lshlrev_b32_e32 v145, 3, v25
	v_lshlrev_b32_e32 v146, 3, v26
	ds_read2_b64 v[25:28], v118 offset1:56
	ds_read2_b64 v[29:32], v118 offset0:112 offset1:168
	ds_read2_b64 v[33:36], v120 offset0:96 offset1:152
	v_lshlrev_b32_e32 v147, 3, v23
	v_lshlrev_b32_e32 v38, 3, v37
	s_waitcnt vmcnt(0) lgkmcnt(0)
	s_barrier
	buffer_gl0_inv
	v_and_or_b32 v0, 0x70, v0, v37
	v_lshlrev_b32_e32 v123, 3, v0
	v_mul_f32_e32 v23, v10, v115
	v_mul_f32_e32 v39, v9, v115
	;; [unrolled: 1-line block ×14, first 2 shown]
	v_fma_f32 v9, v9, v114, -v23
	v_fmac_f32_e32 v39, v10, v114
	v_fma_f32 v11, v11, v114, -v40
	v_fmac_f32_e32 v41, v12, v114
	;; [unrolled: 2-line block ×7, first 2 shown]
	v_sub_f32_e32 v9, v25, v9
	v_sub_f32_e32 v10, v26, v39
	;; [unrolled: 1-line block ×14, first 2 shown]
	v_fma_f32 v25, v25, 2.0, -v9
	v_fma_f32 v26, v26, 2.0, -v10
	;; [unrolled: 1-line block ×14, first 2 shown]
	ds_write2_b64 v141, v[25:26], v[9:10] offset1:4
	ds_write2_b64 v142, v[27:28], v[11:12] offset1:4
	;; [unrolled: 1-line block ×7, first 2 shown]
	s_waitcnt lgkmcnt(0)
	s_barrier
	buffer_gl0_inv
	global_load_dwordx2 v[110:111], v38, s[10:11] offset:48
	v_and_or_b32 v12, 0x1f0, v3, v37
	v_and_or_b32 v13, 0x3f0, v6, v37
	;; [unrolled: 1-line block ×5, first 2 shown]
	ds_read2_b64 v[0:3], v121 offset0:192 offset1:248
	v_lshlrev_b32_e32 v126, 3, v12
	v_lshlrev_b32_e32 v127, 3, v13
	;; [unrolled: 1-line block ×3, first 2 shown]
	ds_read2_b64 v[12:15], v121 offset0:80 offset1:136
	v_and_or_b32 v16, 0x3f0, v5, v37
	ds_read2_b64 v[4:7], v119 offset0:48 offset1:104
	v_lshlrev_b32_e32 v124, 3, v8
	v_lshlrev_b32_e32 v125, 3, v9
	ds_read2_b64 v[8:11], v119 offset0:160 offset1:216
	v_lshlrev_b32_e32 v129, 3, v16
	ds_read2_b64 v[16:19], v118 offset1:56
	ds_read2_b64 v[20:23], v118 offset0:112 offset1:168
	ds_read2_b64 v[27:30], v120 offset0:96 offset1:152
	v_and_b32_e32 v26, 15, v67
	v_and_b32_e32 v25, 15, v24
	s_waitcnt vmcnt(0) lgkmcnt(0)
	s_barrier
	buffer_gl0_inv
	v_mad_u64_u32 v[31:32], null, v26, 48, s[10:11]
	v_mad_u64_u32 v[33:34], null, v25, 48, s[10:11]
	v_lshrrev_b32_e32 v24, 4, v24
	v_mul_u32_u24_e32 v24, 0x70, v24
	v_or_b32_e32 v24, v24, v25
	v_lshlrev_b32_e32 v130, 3, v24
	v_mul_f32_e32 v35, v1, v111
	v_mul_f32_e32 v47, v15, v111
	;; [unrolled: 1-line block ×14, first 2 shown]
	v_fma_f32 v35, v0, v110, -v35
	v_fma_f32 v0, v14, v110, -v47
	v_fmac_f32_e32 v49, v15, v110
	v_fmac_f32_e32 v36, v1, v110
	v_fma_f32 v37, v2, v110, -v37
	v_fmac_f32_e32 v38, v3, v110
	v_fma_f32 v39, v4, v110, -v39
	;; [unrolled: 2-line block ×5, first 2 shown]
	v_fmac_f32_e32 v44, v9, v110
	v_sub_f32_e32 v0, v16, v0
	v_sub_f32_e32 v1, v17, v49
	;; [unrolled: 1-line block ×14, first 2 shown]
	v_fma_f32 v16, v16, 2.0, -v0
	v_fma_f32 v17, v17, 2.0, -v1
	;; [unrolled: 1-line block ×14, first 2 shown]
	ds_write2_b64 v123, v[16:17], v[0:1] offset1:8
	ds_write2_b64 v124, v[18:19], v[2:3] offset1:8
	;; [unrolled: 1-line block ×7, first 2 shown]
	s_waitcnt lgkmcnt(0)
	s_barrier
	buffer_gl0_inv
	s_clause 0x5
	global_load_dwordx4 v[4:7], v[31:32], off offset:112
	global_load_dwordx4 v[0:3], v[33:34], off offset:112
	global_load_dwordx4 v[8:11], v[31:32], off offset:128
	global_load_dwordx4 v[12:15], v[33:34], off offset:128
	global_load_dwordx4 v[16:19], v[31:32], off offset:144
	global_load_dwordx4 v[20:23], v[33:34], off offset:144
	v_lshrrev_b32_e32 v27, 4, v67
	ds_read2_b64 v[35:38], v121 offset0:80 offset1:136
	ds_read2_b64 v[39:42], v121 offset0:192 offset1:248
	v_mul_u32_u24_e32 v31, 0x70, v27
	ds_read2_b64 v[27:30], v118 offset0:112 offset1:168
	v_or_b32_e32 v26, v31, v26
	ds_read2_b64 v[31:34], v120 offset0:96 offset1:152
	ds_read2_b64 v[43:46], v119 offset0:48 offset1:104
	;; [unrolled: 1-line block ×3, first 2 shown]
	ds_read2_b64 v[53:56], v118 offset1:56
	s_waitcnt vmcnt(0) lgkmcnt(0)
	s_barrier
	v_lshlrev_b32_e32 v131, 3, v26
	buffer_gl0_inv
	v_mul_f32_e32 v24, v28, v5
	v_mul_f32_e32 v25, v27, v5
	;; [unrolled: 1-line block ×24, first 2 shown]
	v_fma_f32 v24, v27, v4, -v24
	v_fmac_f32_e32 v25, v28, v4
	v_fma_f32 v26, v29, v0, -v26
	v_fma_f32 v27, v31, v6, -v61
	v_fmac_f32_e32 v62, v32, v6
	v_fma_f32 v28, v33, v2, -v63
	v_fma_f32 v29, v35, v8, -v65
	;; [unrolled: 1-line block ×3, first 2 shown]
	v_fmac_f32_e32 v76, v44, v16
	v_fma_f32 v35, v49, v18, -v79
	v_fmac_f32_e32 v80, v50, v18
	v_fmac_f32_e32 v47, v30, v0
	;; [unrolled: 1-line block ×4, first 2 shown]
	v_fma_f32 v34, v45, v20, -v77
	v_fmac_f32_e32 v78, v46, v20
	v_fma_f32 v36, v51, v22, -v81
	v_fmac_f32_e32 v116, v52, v22
	;; [unrolled: 2-line block ×5, first 2 shown]
	v_add_f32_e32 v37, v24, v35
	v_add_f32_e32 v38, v27, v33
	;; [unrolled: 1-line block ×11, first 2 shown]
	v_sub_f32_e32 v24, v24, v35
	v_sub_f32_e32 v25, v25, v80
	;; [unrolled: 1-line block ×12, first 2 shown]
	v_add_f32_e32 v36, v38, v37
	v_add_f32_e32 v47, v41, v40
	;; [unrolled: 1-line block ×5, first 2 shown]
	v_sub_f32_e32 v61, v37, v39
	v_sub_f32_e32 v62, v39, v38
	;; [unrolled: 1-line block ×3, first 2 shown]
	v_add_f32_e32 v65, v29, v27
	v_sub_f32_e32 v68, v29, v27
	v_add_f32_e32 v69, v31, v33
	v_sub_f32_e32 v70, v31, v33
	v_sub_f32_e32 v33, v33, v25
	v_add_f32_e32 v73, v30, v28
	v_sub_f32_e32 v74, v30, v28
	v_add_f32_e32 v75, v32, v34
	v_sub_f32_e32 v76, v32, v34
	v_sub_f32_e32 v34, v34, v35
	v_add_f32_e32 v36, v39, v36
	v_add_f32_e32 v39, v42, v47
	v_sub_f32_e32 v64, v42, v41
	v_sub_f32_e32 v37, v38, v37
	;; [unrolled: 1-line block ×7, first 2 shown]
	v_add_f32_e32 v42, v45, v51
	v_add_f32_e32 v45, v50, v52
	v_sub_f32_e32 v29, v24, v29
	v_sub_f32_e32 v31, v25, v31
	;; [unrolled: 1-line block ×7, first 2 shown]
	v_add_f32_e32 v46, v65, v24
	v_add_f32_e32 v47, v69, v25
	v_mul_f32_e32 v49, 0x3f4a47b2, v61
	v_mul_f32_e32 v50, 0xbf08b237, v68
	;; [unrolled: 1-line block ×5, first 2 shown]
	v_add_f32_e32 v69, v73, v26
	v_mul_f32_e32 v73, 0xbf08b237, v74
	v_mul_f32_e32 v74, 0xbf08b237, v76
	;; [unrolled: 1-line block ×3, first 2 shown]
	v_add_f32_e32 v24, v53, v36
	v_add_f32_e32 v25, v54, v39
	v_mul_f32_e32 v61, 0x3d64c772, v62
	v_mul_f32_e32 v63, 0xbf5ff5aa, v40
	;; [unrolled: 1-line block ×3, first 2 shown]
	v_sub_f32_e32 v30, v26, v30
	v_mul_f32_e32 v70, 0x3f4a47b2, v27
	v_mul_f32_e32 v71, 0x3f4a47b2, v71
	v_add_f32_e32 v26, v55, v42
	v_add_f32_e32 v27, v56, v45
	;; [unrolled: 1-line block ×3, first 2 shown]
	v_mul_f32_e32 v75, 0x3d64c772, v41
	v_mul_f32_e32 v76, 0xbf5ff5aa, v28
	;; [unrolled: 1-line block ×3, first 2 shown]
	v_fmamk_f32 v53, v29, 0x3eae86e6, v50
	v_fmamk_f32 v54, v31, 0x3eae86e6, v52
	;; [unrolled: 1-line block ×4, first 2 shown]
	v_fmac_f32_e32 v65, 0xbeae86e6, v31
	v_fma_f32 v31, 0xbf3bfb3b, v38, -v51
	v_fmamk_f32 v51, v32, 0x3eae86e6, v74
	v_fma_f32 v62, 0x3f5ff5aa, v34, -v74
	v_fmac_f32_e32 v77, 0xbeae86e6, v32
	v_fmamk_f32 v32, v36, 0xbf955555, v24
	v_fmamk_f32 v34, v39, 0xbf955555, v25
	v_fma_f32 v61, 0x3f3bfb3b, v37, -v61
	v_fma_f32 v37, 0xbf3bfb3b, v37, -v49
	;; [unrolled: 1-line block ×3, first 2 shown]
	v_fmac_f32_e32 v63, 0xbeae86e6, v29
	v_fma_f32 v49, 0x3f5ff5aa, v33, -v52
	v_fma_f32 v29, 0x3f3bfb3b, v38, -v68
	v_fmamk_f32 v52, v30, 0x3eae86e6, v73
	v_fmamk_f32 v33, v41, 0x3d64c772, v70
	;; [unrolled: 1-line block ×5, first 2 shown]
	v_fma_f32 v41, 0x3f3bfb3b, v43, -v75
	v_fma_f32 v43, 0xbf3bfb3b, v43, -v70
	;; [unrolled: 1-line block ×3, first 2 shown]
	v_fmac_f32_e32 v76, 0xbeae86e6, v30
	v_fma_f32 v28, 0x3f3bfb3b, v44, -v78
	v_fma_f32 v30, 0xbf3bfb3b, v44, -v71
	v_fmac_f32_e32 v53, 0x3ee1c552, v46
	v_fmac_f32_e32 v54, 0x3ee1c552, v47
	v_add_f32_e32 v42, v55, v32
	v_add_f32_e32 v44, v56, v34
	v_fmac_f32_e32 v40, 0x3ee1c552, v46
	v_fmac_f32_e32 v63, 0x3ee1c552, v46
	;; [unrolled: 1-line block ×7, first 2 shown]
	v_add_f32_e32 v35, v61, v32
	v_add_f32_e32 v37, v37, v32
	;; [unrolled: 1-line block ×4, first 2 shown]
	v_fmac_f32_e32 v52, 0x3ee1c552, v69
	v_add_f32_e32 v55, v33, v36
	v_add_f32_e32 v56, v38, v39
	v_fmac_f32_e32 v50, 0x3ee1c552, v69
	v_fmac_f32_e32 v76, 0x3ee1c552, v69
	v_add_f32_e32 v47, v41, v36
	v_add_f32_e32 v61, v43, v36
	;; [unrolled: 1-line block ×5, first 2 shown]
	v_sub_f32_e32 v29, v44, v53
	v_add_f32_e32 v30, v65, v37
	v_sub_f32_e32 v31, v45, v63
	v_sub_f32_e32 v32, v35, v49
	v_add_f32_e32 v33, v40, v46
	v_add_f32_e32 v34, v49, v35
	v_sub_f32_e32 v35, v46, v40
	v_sub_f32_e32 v36, v37, v65
	v_add_f32_e32 v37, v63, v45
	v_sub_f32_e32 v38, v42, v54
	v_add_f32_e32 v39, v53, v44
	v_add_f32_e32 v40, v51, v55
	v_sub_f32_e32 v41, v56, v52
	v_add_f32_e32 v42, v77, v61
	v_sub_f32_e32 v43, v64, v76
	v_sub_f32_e32 v44, v47, v62
	v_add_f32_e32 v45, v50, v68
	v_add_f32_e32 v46, v62, v47
	v_sub_f32_e32 v47, v68, v50
	v_sub_f32_e32 v49, v61, v77
	v_add_f32_e32 v50, v76, v64
	v_sub_f32_e32 v51, v55, v51
	v_add_f32_e32 v52, v52, v56
	ds_write2_b64 v131, v[24:25], v[28:29] offset1:16
	ds_write2_b64 v131, v[30:31], v[32:33] offset0:32 offset1:48
	ds_write2_b64 v131, v[34:35], v[36:37] offset0:64 offset1:80
	ds_write_b64 v131, v[38:39] offset:768
	ds_write2_b64 v130, v[26:27], v[40:41] offset1:16
	ds_write2_b64 v130, v[42:43], v[44:45] offset0:32 offset1:48
	ds_write2_b64 v130, v[46:47], v[49:50] offset0:64 offset1:80
	ds_write_b64 v130, v[51:52] offset:768
	v_add_co_u32 v40, vcc_lo, 0xdf0, v57
	v_add_co_ci_u32_e32 v41, vcc_lo, 0, v58, vcc_lo
	s_waitcnt lgkmcnt(0)
	s_barrier
	buffer_gl0_inv
	s_clause 0x5
	global_load_dwordx4 v[24:27], v[57:58], off offset:880
	global_load_dwordx4 v[28:31], v[59:60], off offset:1520
	;; [unrolled: 1-line block ×6, first 2 shown]
	ds_read2_b64 v[49:52], v118 offset0:112 offset1:168
	ds_read2_b64 v[53:56], v120 offset0:96 offset1:152
	;; [unrolled: 1-line block ×6, first 2 shown]
	ds_read2_b64 v[76:79], v118 offset1:56
	s_waitcnt vmcnt(3) lgkmcnt(4)
	v_mul_f32_e32 v151, v58, v33
	v_mul_f32_e32 v65, v50, v25
	;; [unrolled: 1-line block ×7, first 2 shown]
	s_waitcnt vmcnt(2)
	v_mul_f32_e32 v154, v59, v37
	v_mul_f32_e32 v148, v53, v27
	;; [unrolled: 1-line block ×5, first 2 shown]
	v_fma_f32 v49, v49, v24, -v65
	v_fmac_f32_e32 v80, v50, v24
	v_fma_f32 v50, v51, v28, -v81
	v_fmac_f32_e32 v116, v52, v28
	s_waitcnt lgkmcnt(3)
	v_mul_f32_e32 v51, v62, v35
	v_mul_f32_e32 v52, v61, v35
	;; [unrolled: 1-line block ×3, first 2 shown]
	v_fma_f32 v53, v53, v26, -v117
	v_fmac_f32_e32 v150, v56, v30
	s_waitcnt vmcnt(1) lgkmcnt(2)
	v_mul_f32_e32 v56, v68, v45
	s_waitcnt vmcnt(0)
	v_mul_f32_e32 v117, v71, v41
	v_fma_f32 v57, v57, v32, -v151
	v_fmac_f32_e32 v154, v60, v36
	s_waitcnt lgkmcnt(1)
	v_mul_f32_e32 v60, v72, v47
	v_mul_f32_e32 v151, v75, v43
	;; [unrolled: 1-line block ×3, first 2 shown]
	v_fmac_f32_e32 v148, v54, v26
	v_fma_f32 v54, v55, v30, -v149
	v_mul_f32_e32 v55, v69, v45
	v_mul_f32_e32 v149, v70, v41
	v_fmac_f32_e32 v152, v58, v32
	v_fma_f32 v58, v59, v36, -v153
	v_mul_f32_e32 v59, v73, v47
	v_mul_f32_e32 v153, v74, v43
	v_fma_f32 v51, v61, v34, -v51
	v_fmac_f32_e32 v52, v62, v34
	v_fma_f32 v61, v63, v38, -v65
	v_fmac_f32_e32 v56, v69, v44
	;; [unrolled: 2-line block ×3, first 2 shown]
	v_fma_f32 v63, v74, v42, -v151
	v_fma_f32 v55, v68, v44, -v55
	;; [unrolled: 1-line block ×3, first 2 shown]
	v_fmac_f32_e32 v149, v71, v40
	v_fmac_f32_e32 v153, v75, v42
	v_add_f32_e32 v68, v80, v60
	v_add_f32_e32 v69, v148, v56
	;; [unrolled: 1-line block ×4, first 2 shown]
	v_fmac_f32_e32 v81, v64, v38
	v_add_f32_e32 v64, v49, v59
	v_add_f32_e32 v65, v53, v55
	;; [unrolled: 1-line block ×7, first 2 shown]
	v_sub_f32_e32 v49, v49, v59
	v_sub_f32_e32 v59, v80, v60
	;; [unrolled: 1-line block ×9, first 2 shown]
	v_add_f32_e32 v62, v69, v68
	v_add_f32_e32 v63, v73, v72
	v_sub_f32_e32 v57, v150, v149
	v_sub_f32_e32 v60, v81, v154
	v_add_f32_e32 v151, v154, v81
	v_sub_f32_e32 v56, v116, v153
	v_add_f32_e32 v61, v65, v64
	v_add_f32_e32 v80, v117, v75
	;; [unrolled: 1-line block ×3, first 2 shown]
	v_sub_f32_e32 v152, v51, v53
	v_sub_f32_e32 v153, v49, v51
	v_add_f32_e32 v51, v52, v55
	v_sub_f32_e32 v154, v52, v55
	v_sub_f32_e32 v55, v55, v59
	;; [unrolled: 1-line block ×3, first 2 shown]
	v_add_f32_e32 v52, v58, v54
	v_add_f32_e32 v62, v71, v62
	;; [unrolled: 1-line block ×3, first 2 shown]
	v_sub_f32_e32 v116, v69, v68
	v_sub_f32_e32 v69, v71, v69
	;; [unrolled: 1-line block ×3, first 2 shown]
	v_add_f32_e32 v71, v60, v57
	v_sub_f32_e32 v81, v65, v64
	v_sub_f32_e32 v65, v70, v65
	;; [unrolled: 1-line block ×10, first 2 shown]
	v_add_f32_e32 v61, v70, v61
	v_sub_f32_e32 v70, v58, v54
	v_sub_f32_e32 v54, v54, v50
	;; [unrolled: 1-line block ×3, first 2 shown]
	v_add_f32_e32 v74, v151, v80
	v_add_f32_e32 v59, v51, v59
	;; [unrolled: 1-line block ×3, first 2 shown]
	s_waitcnt lgkmcnt(0)
	v_add_f32_e32 v50, v77, v62
	v_add_f32_e32 v51, v78, v63
	v_mul_f32_e32 v77, 0xbf08b237, v154
	v_mul_f32_e32 v78, 0xbf5ff5aa, v55
	v_sub_f32_e32 v80, v60, v57
	v_sub_f32_e32 v57, v57, v56
	;; [unrolled: 1-line block ×3, first 2 shown]
	v_add_f32_e32 v56, v71, v56
	v_mul_f32_e32 v71, 0xbf08b237, v152
	v_add_f32_e32 v150, v150, v49
	v_add_f32_e32 v49, v76, v61
	;; [unrolled: 1-line block ×3, first 2 shown]
	v_mul_f32_e32 v76, 0xbf5ff5aa, v53
	v_mul_f32_e32 v64, 0x3f4a47b2, v64
	;; [unrolled: 1-line block ×5, first 2 shown]
	v_fma_f32 v55, 0x3f5ff5aa, v55, -v77
	v_fmac_f32_e32 v78, 0xbeae86e6, v155
	v_fmamk_f32 v77, v155, 0x3eae86e6, v77
	v_mul_f32_e32 v70, 0xbf08b237, v70
	v_fma_f32 v154, 0x3f5ff5aa, v53, -v71
	v_mul_f32_e32 v53, 0xbf08b237, v80
	v_mul_f32_e32 v80, 0xbf5ff5aa, v57
	v_fmac_f32_e32 v76, 0xbeae86e6, v153
	v_fmamk_f32 v71, v153, 0x3eae86e6, v71
	v_mul_f32_e32 v153, 0xbf5ff5aa, v54
	v_mul_f32_e32 v72, 0x3f4a47b2, v72
	v_fma_f32 v79, 0x3f3bfb3b, v81, -v79
	v_fma_f32 v81, 0xbf3bfb3b, v81, -v64
	v_fmamk_f32 v64, v65, 0x3d64c772, v64
	v_mul_f32_e32 v65, 0x3d64c772, v73
	v_mul_f32_e32 v75, 0x3f4a47b2, v75
	v_fma_f32 v152, 0x3f3bfb3b, v116, -v152
	v_fma_f32 v116, 0xbf3bfb3b, v116, -v68
	v_fmamk_f32 v68, v69, 0x3d64c772, v68
	v_mul_f32_e32 v69, 0x3d64c772, v117
	v_fmac_f32_e32 v55, 0x3ee1c552, v59
	v_fmac_f32_e32 v78, 0x3ee1c552, v59
	;; [unrolled: 1-line block ×3, first 2 shown]
	v_fmamk_f32 v59, v61, 0xbf955555, v49
	v_fmamk_f32 v61, v62, 0xbf955555, v50
	v_fma_f32 v155, 0x3f5ff5aa, v54, -v70
	v_fmamk_f32 v156, v58, 0x3eae86e6, v70
	v_fma_f32 v70, 0x3f5ff5aa, v57, -v53
	v_fmac_f32_e32 v80, 0xbeae86e6, v60
	v_fmamk_f32 v157, v60, 0x3eae86e6, v53
	v_fmac_f32_e32 v153, 0xbeae86e6, v58
	v_fma_f32 v53, 0x3f3bfb3b, v148, -v65
	v_fma_f32 v54, 0xbf3bfb3b, v148, -v72
	v_fmamk_f32 v57, v73, 0x3d64c772, v72
	v_fma_f32 v58, 0x3f3bfb3b, v149, -v69
	v_fma_f32 v60, 0xbf3bfb3b, v149, -v75
	v_fmamk_f32 v65, v117, 0x3d64c772, v75
	v_fmac_f32_e32 v71, 0x3ee1c552, v150
	v_fmamk_f32 v62, v63, 0xbf955555, v51
	v_fmamk_f32 v63, v74, 0xbf955555, v52
	v_add_f32_e32 v64, v64, v59
	v_add_f32_e32 v68, v68, v61
	v_fmac_f32_e32 v76, 0x3ee1c552, v150
	v_add_f32_e32 v72, v81, v59
	v_add_f32_e32 v73, v116, v61
	v_fmac_f32_e32 v154, 0x3ee1c552, v150
	v_fmac_f32_e32 v70, 0x3ee1c552, v56
	;; [unrolled: 1-line block ×4, first 2 shown]
	v_add_f32_e32 v56, v79, v59
	v_add_f32_e32 v69, v152, v61
	v_fmac_f32_e32 v155, 0x3ee1c552, v151
	v_fmac_f32_e32 v153, 0x3ee1c552, v151
	v_fmac_f32_e32 v156, 0x3ee1c552, v151
	v_add_f32_e32 v74, v53, v62
	v_add_f32_e32 v75, v58, v63
	;; [unrolled: 1-line block ×7, first 2 shown]
	v_sub_f32_e32 v62, v68, v71
	v_add_f32_e32 v57, v78, v72
	v_sub_f32_e32 v58, v73, v76
	v_sub_f32_e32 v53, v56, v55
	v_add_f32_e32 v54, v154, v69
	v_add_f32_e32 v55, v55, v56
	v_sub_f32_e32 v56, v69, v154
	v_sub_f32_e32 v59, v72, v78
	v_add_f32_e32 v60, v76, v73
	v_sub_f32_e32 v63, v64, v77
	v_add_f32_e32 v64, v71, v68
	;; [unrolled: 2-line block ×3, first 2 shown]
	v_add_f32_e32 v70, v70, v74
	v_sub_f32_e32 v71, v75, v155
	v_add_f32_e32 v72, v80, v79
	v_sub_f32_e32 v73, v81, v153
	v_sub_f32_e32 v74, v79, v80
	v_add_f32_e32 v75, v153, v81
	v_add_f32_e32 v76, v157, v116
	v_sub_f32_e32 v77, v65, v156
	v_sub_f32_e32 v78, v116, v157
	v_add_f32_e32 v79, v156, v65
	ds_write_b64 v118, v[61:62] offset:896
	ds_write_b64 v118, v[57:58] offset:1792
	ds_write_b64 v118, v[53:54] offset:2688
	ds_write_b64 v118, v[55:56] offset:3584
	ds_write_b64 v118, v[59:60] offset:4480
	ds_write_b64 v118, v[63:64] offset:5376
	ds_write2_b64 v118, v[49:50], v[51:52] offset1:56
	ds_write_b64 v118, v[76:77] offset:1344
	ds_write_b64 v118, v[72:73] offset:2240
	;; [unrolled: 1-line block ×6, first 2 shown]
	s_waitcnt lgkmcnt(0)
	s_barrier
	buffer_gl0_inv
	s_clause 0x1
	global_load_dwordx2 v[52:53], v118, s[6:7]
	global_load_dwordx2 v[60:61], v118, s[6:7] offset:448
	v_add_co_u32 v50, s8, s6, v118
	v_add_co_ci_u32_e64 v51, null, s7, 0, s8
	global_load_dwordx2 v[62:63], v48, s[6:7]
	v_add_co_u32 v48, vcc_lo, 0x800, v50
	v_add_co_ci_u32_e32 v49, vcc_lo, 0, v51, vcc_lo
	s_clause 0x2
	global_load_dwordx2 v[64:65], v[48:49], off offset:1984
	global_load_dwordx2 v[68:69], v118, s[6:7] offset:896
	global_load_dwordx2 v[70:71], v118, s[6:7] offset:1344
	v_add_co_u32 v50, vcc_lo, 0x1000, v50
	v_add_co_ci_u32_e32 v51, vcc_lo, 0, v51, vcc_lo
	s_clause 0x7
	global_load_dwordx2 v[72:73], v[50:51], off offset:384
	global_load_dwordx2 v[74:75], v[50:51], off offset:832
	;; [unrolled: 1-line block ×4, first 2 shown]
	global_load_dwordx2 v[80:81], v118, s[6:7] offset:1792
	global_load_dwordx2 v[116:117], v[48:49], off offset:1088
	global_load_dwordx2 v[148:149], v[50:51], off offset:1280
	;; [unrolled: 1-line block ×3, first 2 shown]
	ds_read2_b64 v[48:51], v118 offset1:56
	s_mul_hi_u32 s6, s0, 0xc40
	s_mul_i32 s8, s1, 0xfffff580
	s_mul_i32 s7, s0, 0xfffff580
	s_waitcnt vmcnt(13) lgkmcnt(0)
	v_mul_f32_e32 v55, v49, v53
	v_mul_f32_e32 v54, v48, v53
	s_waitcnt vmcnt(12)
	v_mul_f32_e32 v153, v50, v61
	v_fma_f32 v53, v48, v52, -v55
	v_fmac_f32_e32 v54, v49, v52
	v_mul_f32_e32 v48, v51, v61
	v_fmac_f32_e32 v153, v51, v60
	ds_write_b64 v118, v[53:54]
	ds_read2_b64 v[52:55], v121 offset0:192 offset1:248
	ds_read2_b64 v[56:59], v118 offset0:112 offset1:168
	v_fma_f32 v152, v50, v60, -v48
	ds_read2_b64 v[48:51], v119 offset0:48 offset1:104
	s_waitcnt vmcnt(11) lgkmcnt(2)
	v_mul_f32_e32 v154, v53, v63
	v_mul_f32_e32 v61, v52, v63
	s_waitcnt vmcnt(10)
	v_mul_f32_e32 v63, v54, v65
	v_fma_f32 v60, v52, v62, -v154
	v_mul_f32_e32 v52, v55, v65
	s_waitcnt vmcnt(9) lgkmcnt(1)
	v_mul_f32_e32 v154, v57, v69
	v_fmac_f32_e32 v61, v53, v62
	v_fmac_f32_e32 v63, v55, v64
	v_mul_f32_e32 v65, v56, v69
	v_fma_f32 v62, v54, v64, -v52
	ds_read2_b64 v[52:55], v120 offset0:96 offset1:152
	v_fma_f32 v64, v56, v68, -v154
	s_waitcnt vmcnt(8)
	v_mul_f32_e32 v56, v59, v71
	v_fmac_f32_e32 v65, v57, v68
	v_mul_f32_e32 v69, v58, v71
	s_waitcnt vmcnt(7) lgkmcnt(1)
	v_mul_f32_e32 v71, v48, v73
	s_waitcnt vmcnt(6)
	v_mul_f32_e32 v154, v51, v75
	v_fma_f32 v68, v58, v70, -v56
	v_mul_f32_e32 v56, v49, v73
	v_fmac_f32_e32 v69, v59, v70
	v_mul_f32_e32 v73, v50, v75
	v_fmac_f32_e32 v71, v49, v72
	v_fma_f32 v70, v48, v72, -v56
	ds_read2_b64 v[56:59], v121 offset0:80 offset1:136
	v_fma_f32 v72, v50, v74, -v154
	v_fmac_f32_e32 v73, v51, v74
	ds_read2_b64 v[48:51], v119 offset0:160 offset1:216
	s_waitcnt vmcnt(3) lgkmcnt(2)
	v_mul_f32_e32 v74, v53, v81
	v_mul_f32_e32 v75, v52, v81
	v_fma_f32 v74, v52, v80, -v74
	v_mul_f32_e32 v52, v55, v77
	v_fmac_f32_e32 v75, v53, v80
	v_mul_f32_e32 v53, v54, v77
	v_fma_f32 v52, v54, v76, -v52
	v_fmac_f32_e32 v53, v55, v76
	s_waitcnt vmcnt(2) lgkmcnt(1)
	v_mul_f32_e32 v54, v59, v117
	v_mul_f32_e32 v55, v58, v117
	;; [unrolled: 1-line block ×4, first 2 shown]
	s_waitcnt vmcnt(1) lgkmcnt(0)
	v_mul_f32_e32 v80, v49, v149
	v_fma_f32 v54, v58, v116, -v54
	v_mul_f32_e32 v58, v48, v149
	v_fmac_f32_e32 v55, v59, v116
	s_waitcnt vmcnt(0)
	v_mul_f32_e32 v59, v51, v151
	v_fma_f32 v76, v56, v78, -v76
	v_mul_f32_e32 v79, v50, v151
	v_add_nc_u32_e32 v56, 0xc00, v118
	v_fmac_f32_e32 v77, v57, v78
	v_fma_f32 v57, v48, v148, -v80
	v_fmac_f32_e32 v58, v49, v148
	v_fma_f32 v78, v50, v150, -v59
	v_fmac_f32_e32 v79, v51, v150
	ds_write2_b64 v56, v[62:63], v[70:71] offset0:120 offset1:176
	ds_write2_b64 v121, v[54:55], v[60:61] offset0:136 offset1:192
	;; [unrolled: 1-line block ×6, first 2 shown]
	ds_write_b64 v118, v[78:79] offset:5824
	s_waitcnt lgkmcnt(0)
	s_barrier
	buffer_gl0_inv
	ds_read2_b64 v[148:151], v118 offset1:56
	ds_read2_b64 v[54:57], v121 offset0:192 offset1:248
	ds_read2_b64 v[152:155], v118 offset0:112 offset1:168
	;; [unrolled: 1-line block ×6, first 2 shown]
	s_waitcnt lgkmcnt(0)
	s_barrier
	buffer_gl0_inv
	v_mad_u64_u32 v[116:117], null, s0, v122, 0
	v_sub_f32_e32 v54, v150, v54
	v_sub_f32_e32 v55, v151, v55
	v_sub_f32_e32 v64, v154, v68
	v_sub_f32_e32 v68, v48, v70
	v_sub_f32_e32 v58, v152, v56
	v_sub_f32_e32 v80, v148, v62
	v_sub_f32_e32 v81, v149, v63
	v_fma_f32 v52, v150, 2.0, -v54
	v_fma_f32 v53, v151, 2.0, -v55
	v_mad_u64_u32 v[150:151], null, s0, v67, 0
	v_fma_f32 v78, v148, 2.0, -v80
	v_fma_f32 v79, v149, 2.0, -v81
	v_mad_u64_u32 v[148:149], null, s2, v66, 0
	v_sub_f32_e32 v59, v153, v57
	v_sub_f32_e32 v65, v155, v69
	;; [unrolled: 1-line block ×6, first 2 shown]
	v_mov_b32_e32 v70, v149
	v_sub_f32_e32 v77, v61, v75
	v_fma_f32 v56, v152, 2.0, -v58
	v_fma_f32 v57, v153, 2.0, -v59
	;; [unrolled: 1-line block ×3, first 2 shown]
	v_mad_u64_u32 v[70:71], null, s3, v66, v[70:71]
	v_mov_b32_e32 v66, v151
	v_fma_f32 v63, v155, 2.0, -v65
	v_fma_f32 v71, v51, 2.0, -v73
	;; [unrolled: 1-line block ×4, first 2 shown]
	v_mad_u64_u32 v[151:152], null, s1, v67, v[66:67]
	v_fma_f32 v66, v48, 2.0, -v68
	v_fma_f32 v67, v49, 2.0, -v69
	v_mov_b32_e32 v149, v70
	v_fma_f32 v70, v50, 2.0, -v72
	ds_write_b128 v133, v[78:81]
	ds_write_b128 v133, v[52:55] offset:896
	ds_write_b128 v132, v[56:59] offset:1792
	ds_write_b128 v132, v[62:65] offset:2688
	ds_write_b128 v132, v[66:69] offset:3584
	ds_write_b128 v132, v[70:73] offset:4480
	ds_write_b128 v132, v[74:77] offset:5376
	s_waitcnt lgkmcnt(0)
	s_barrier
	buffer_gl0_inv
	ds_read2_b64 v[48:51], v121 offset0:192 offset1:248
	ds_read2_b64 v[52:55], v119 offset0:48 offset1:104
	;; [unrolled: 1-line block ×4, first 2 shown]
	ds_read2_b64 v[66:69], v118 offset1:56
	ds_read2_b64 v[70:73], v118 offset0:112 offset1:168
	ds_read2_b64 v[74:77], v120 offset0:96 offset1:152
	v_lshlrev_b64 v[64:65], 3, v[148:149]
	v_lshlrev_b64 v[78:79], 3, v[150:151]
	s_load_dwordx2 s[2:3], s[4:5], 0x38
	s_waitcnt lgkmcnt(0)
	s_barrier
	buffer_gl0_inv
	s_mul_i32 s5, s1, 0xc40
	s_mul_i32 s4, s0, 0xc40
	s_add_i32 s5, s6, s5
	s_add_i32 s6, s9, s8
	v_mul_f32_e32 v80, v113, v49
	v_mul_f32_e32 v81, v113, v48
	;; [unrolled: 1-line block ×12, first 2 shown]
	v_fmac_f32_e32 v80, v112, v48
	v_fma_f32 v81, v112, v49, -v81
	v_mul_f32_e32 v156, v113, v59
	v_mul_f32_e32 v48, v113, v58
	v_fmac_f32_e32 v154, v112, v62
	v_fma_f32 v49, v112, v63, -v155
	v_fmac_f32_e32 v132, v112, v50
	v_fma_f32 v133, v112, v51, -v133
	;; [unrolled: 2-line block ×6, first 2 shown]
	v_sub_f32_e32 v48, v66, v154
	v_sub_f32_e32 v49, v67, v49
	v_sub_f32_e32 v50, v68, v80
	v_sub_f32_e32 v51, v69, v81
	v_sub_f32_e32 v52, v70, v132
	v_sub_f32_e32 v53, v71, v133
	v_sub_f32_e32 v54, v72, v148
	v_sub_f32_e32 v55, v73, v113
	v_sub_f32_e32 v56, v74, v150
	v_sub_f32_e32 v57, v75, v149
	v_sub_f32_e32 v58, v76, v152
	v_sub_f32_e32 v59, v77, v62
	v_sub_f32_e32 v62, v60, v156
	v_sub_f32_e32 v63, v61, v63
	v_fma_f32 v66, v66, 2.0, -v48
	v_fma_f32 v67, v67, 2.0, -v49
	;; [unrolled: 1-line block ×14, first 2 shown]
	ds_write2_b64 v134, v[66:67], v[48:49] offset1:2
	ds_write2_b64 v135, v[68:69], v[50:51] offset1:2
	;; [unrolled: 1-line block ×7, first 2 shown]
	s_waitcnt lgkmcnt(0)
	s_barrier
	buffer_gl0_inv
	ds_read2_b64 v[48:51], v121 offset0:192 offset1:248
	ds_read2_b64 v[52:55], v119 offset0:48 offset1:104
	;; [unrolled: 1-line block ×4, first 2 shown]
	v_add_co_u32 v64, vcc_lo, s2, v64
	v_add_co_ci_u32_e32 v65, vcc_lo, s3, v65, vcc_lo
	v_add_co_u32 v56, vcc_lo, v64, v78
	v_add_co_ci_u32_e32 v57, vcc_lo, v65, v79, vcc_lo
	ds_read2_b64 v[74:77], v118 offset1:56
	ds_read2_b64 v[78:81], v118 offset0:112 offset1:168
	ds_read2_b64 v[132:135], v120 offset0:96 offset1:152
	s_waitcnt lgkmcnt(0)
	s_barrier
	buffer_gl0_inv
	v_add_co_u32 v58, vcc_lo, v56, s4
	v_add_co_ci_u32_e32 v59, vcc_lo, s5, v57, vcc_lo
	v_mul_f32_e32 v62, v115, v49
	v_mul_f32_e32 v63, v115, v48
	;; [unrolled: 1-line block ×14, first 2 shown]
	v_fma_f32 v63, v114, v49, -v63
	v_fmac_f32_e32 v62, v114, v48
	v_fmac_f32_e32 v112, v114, v50
	;; [unrolled: 1-line block ×3, first 2 shown]
	v_fma_f32 v49, v114, v73, -v115
	v_fma_f32 v113, v114, v51, -v113
	v_fmac_f32_e32 v136, v114, v52
	v_fma_f32 v137, v114, v53, -v137
	v_fmac_f32_e32 v138, v114, v54
	v_fma_f32 v139, v114, v55, -v139
	v_fmac_f32_e32 v149, v114, v68
	v_fmac_f32_e32 v140, v114, v66
	v_fma_f32 v67, v114, v67, -v148
	v_fma_f32 v69, v114, v69, -v150
	v_sub_f32_e32 v48, v74, v151
	v_sub_f32_e32 v49, v75, v49
	;; [unrolled: 1-line block ×14, first 2 shown]
	v_fma_f32 v72, v74, 2.0, -v48
	v_fma_f32 v73, v75, 2.0, -v49
	v_fma_f32 v74, v76, 2.0, -v50
	v_fma_f32 v75, v77, 2.0, -v51
	v_fma_f32 v76, v78, 2.0, -v52
	v_fma_f32 v77, v79, 2.0, -v53
	v_fma_f32 v78, v80, 2.0, -v54
	v_fma_f32 v79, v81, 2.0, -v55
	v_fma_f32 v80, v132, 2.0, -v62
	v_fma_f32 v81, v133, 2.0, -v63
	v_fma_f32 v70, v70, 2.0, -v68
	v_fma_f32 v112, v134, 2.0, -v66
	v_fma_f32 v113, v135, 2.0, -v67
	v_fma_f32 v71, v71, 2.0, -v69
	ds_write2_b64 v141, v[72:73], v[48:49] offset1:4
	ds_write2_b64 v142, v[74:75], v[50:51] offset1:4
	;; [unrolled: 1-line block ×7, first 2 shown]
	v_mov_b32_e32 v70, v117
	s_waitcnt lgkmcnt(0)
	s_barrier
	buffer_gl0_inv
	ds_read2_b64 v[52:55], v121 offset0:192 offset1:248
	ds_read2_b64 v[48:51], v119 offset0:48 offset1:104
	;; [unrolled: 1-line block ×3, first 2 shown]
	v_mad_u64_u32 v[132:133], null, s1, v122, v[70:71]
	ds_read2_b64 v[70:73], v121 offset0:80 offset1:136
	ds_read2_b64 v[74:77], v118 offset1:56
	ds_read2_b64 v[78:81], v118 offset0:112 offset1:168
	ds_read2_b64 v[112:115], v120 offset0:96 offset1:152
	v_add_co_u32 v60, vcc_lo, v58, s7
	v_add_co_ci_u32_e32 v61, vcc_lo, s6, v59, vcc_lo
	s_waitcnt lgkmcnt(0)
	s_barrier
	buffer_gl0_inv
	v_mad_u64_u32 v[62:63], null, 0x1c0, s0, v[60:61]
	v_mul_f32_e32 v117, v111, v53
	v_mul_f32_e32 v122, v111, v52
	;; [unrolled: 1-line block ×14, first 2 shown]
	v_fmac_f32_e32 v117, v110, v52
	v_fma_f32 v52, v110, v53, -v122
	v_fma_f32 v53, v110, v55, -v134
	v_fma_f32 v55, v110, v49, -v136
	v_fmac_f32_e32 v143, v110, v72
	v_fma_f32 v49, v110, v73, -v111
	v_fmac_f32_e32 v133, v110, v54
	v_fmac_f32_e32 v135, v110, v48
	;; [unrolled: 1-line block ×3, first 2 shown]
	v_fma_f32 v122, v110, v51, -v138
	v_fmac_f32_e32 v139, v110, v66
	v_fma_f32 v72, v110, v67, -v140
	v_fmac_f32_e32 v141, v110, v68
	v_fma_f32 v73, v110, v69, -v142
	v_sub_f32_e32 v48, v74, v143
	v_sub_f32_e32 v49, v75, v49
	;; [unrolled: 1-line block ×14, first 2 shown]
	v_fma_f32 v74, v74, 2.0, -v48
	v_fma_f32 v75, v75, 2.0, -v49
	;; [unrolled: 1-line block ×4, first 2 shown]
	v_mov_b32_e32 v117, v132
	v_fma_f32 v78, v78, 2.0, -v52
	v_fma_f32 v79, v79, 2.0, -v53
	;; [unrolled: 1-line block ×10, first 2 shown]
	ds_write2_b64 v123, v[74:75], v[48:49] offset1:8
	ds_write2_b64 v124, v[76:77], v[50:51] offset1:8
	;; [unrolled: 1-line block ×7, first 2 shown]
	s_waitcnt lgkmcnt(0)
	s_barrier
	buffer_gl0_inv
	ds_read2_b64 v[50:53], v118 offset0:112 offset1:168
	ds_read2_b64 v[66:69], v120 offset0:96 offset1:152
	;; [unrolled: 1-line block ×4, first 2 shown]
	v_lshlrev_b64 v[48:49], 3, v[116:117]
	ds_read2_b64 v[78:81], v119 offset0:48 offset1:104
	ds_read2_b64 v[110:113], v119 offset0:160 offset1:216
	ds_read2_b64 v[114:117], v118 offset1:56
	v_mad_u64_u32 v[54:55], null, 0x1c0, s1, v[63:64]
	s_waitcnt lgkmcnt(0)
	s_barrier
	buffer_gl0_inv
	s_mov_b32 s0, 0xa72f0539
	s_mov_b32 s1, 0x3f54e5e0
	v_mov_b32_e32 v63, v54
	v_mul_f32_e32 v54, v5, v51
	v_mul_f32_e32 v5, v5, v50
	;; [unrolled: 1-line block ×24, first 2 shown]
	v_fmac_f32_e32 v54, v4, v50
	v_fma_f32 v4, v4, v51, -v5
	v_fmac_f32_e32 v55, v6, v66
	v_fma_f32 v5, v6, v67, -v7
	;; [unrolled: 2-line block ×11, first 2 shown]
	v_fma_f32 v7, v14, v77, -v15
	v_add_f32_e32 v12, v54, v129
	v_add_f32_e32 v13, v55, v128
	;; [unrolled: 1-line block ×4, first 2 shown]
	v_fmac_f32_e32 v127, v14, v76
	v_add_f32_e32 v14, v124, v125
	v_add_f32_e32 v17, v2, v3
	;; [unrolled: 1-line block ×6, first 2 shown]
	v_sub_f32_e32 v4, v4, v9
	v_sub_f32_e32 v9, v55, v128
	;; [unrolled: 1-line block ×5, first 2 shown]
	v_add_f32_e32 v23, v6, v7
	v_sub_f32_e32 v0, v0, v11
	v_sub_f32_e32 v1, v1, v10
	;; [unrolled: 1-line block ×3, first 2 shown]
	v_add_f32_e32 v7, v13, v12
	v_add_f32_e32 v51, v16, v15
	;; [unrolled: 1-line block ×3, first 2 shown]
	v_sub_f32_e32 v50, v54, v129
	v_sub_f32_e32 v3, v122, v133
	;; [unrolled: 1-line block ×4, first 2 shown]
	v_add_f32_e32 v52, v19, v18
	v_add_f32_e32 v53, v22, v21
	v_sub_f32_e32 v54, v12, v14
	v_sub_f32_e32 v55, v14, v13
	v_add_f32_e32 v68, v8, v9
	v_sub_f32_e32 v69, v8, v9
	v_add_f32_e32 v70, v2, v5
	v_sub_f32_e32 v71, v2, v5
	v_sub_f32_e32 v5, v5, v4
	;; [unrolled: 1-line block ×4, first 2 shown]
	v_add_f32_e32 v73, v6, v1
	v_sub_f32_e32 v75, v6, v1
	v_sub_f32_e32 v76, v1, v0
	v_add_f32_e32 v7, v14, v7
	v_add_f32_e32 v14, v17, v51
	v_sub_f32_e32 v72, v4, v2
	v_sub_f32_e32 v12, v13, v12
	;; [unrolled: 1-line block ×10, first 2 shown]
	v_add_f32_e32 v22, v10, v11
	v_sub_f32_e32 v74, v10, v11
	v_sub_f32_e32 v11, v11, v3
	v_sub_f32_e32 v8, v50, v8
	v_add_f32_e32 v17, v20, v52
	v_add_f32_e32 v20, v23, v53
	;; [unrolled: 1-line block ×3, first 2 shown]
	v_mul_f32_e32 v50, 0x3f4a47b2, v54
	v_mul_f32_e32 v51, 0x3f08b237, v69
	;; [unrolled: 1-line block ×5, first 2 shown]
	v_sub_f32_e32 v6, v0, v6
	v_add_f32_e32 v4, v70, v4
	v_mul_f32_e32 v52, 0x3f4a47b2, v66
	v_mul_f32_e32 v69, 0x3d64c772, v67
	v_add_f32_e32 v70, v73, v0
	v_mul_f32_e32 v75, 0x3f08b237, v75
	v_mul_f32_e32 v79, 0x3f5ff5aa, v76
	v_add_f32_e32 v0, v114, v7
	v_add_f32_e32 v1, v115, v14
	v_sub_f32_e32 v10, v3, v10
	v_mul_f32_e32 v66, 0x3f5ff5aa, v9
	v_mul_f32_e32 v71, 0x3f4a47b2, v2
	;; [unrolled: 1-line block ×6, first 2 shown]
	v_add_f32_e32 v22, v22, v3
	v_mul_f32_e32 v73, 0x3d64c772, v16
	v_add_f32_e32 v2, v116, v17
	v_add_f32_e32 v3, v117, v20
	v_fmamk_f32 v80, v8, 0xbeae86e6, v51
	v_fmamk_f32 v81, v72, 0xbeae86e6, v53
	;; [unrolled: 1-line block ×3, first 2 shown]
	v_fma_f32 v54, 0x3f3bfb3b, v12, -v54
	v_fma_f32 v12, 0xbf3bfb3b, v12, -v50
	;; [unrolled: 1-line block ×4, first 2 shown]
	v_fmac_f32_e32 v68, 0x3eae86e6, v72
	v_fmamk_f32 v67, v67, 0x3d64c772, v52
	v_fma_f32 v5, 0x3f3bfb3b, v13, -v69
	v_fmamk_f32 v69, v6, 0xbeae86e6, v75
	v_fmac_f32_e32 v79, 0x3eae86e6, v6
	v_fmamk_f32 v6, v7, 0xbf955555, v0
	v_fmamk_f32 v7, v14, 0xbf955555, v1
	v_fmac_f32_e32 v66, 0x3eae86e6, v8
	v_fma_f32 v8, 0xbf3bfb3b, v13, -v52
	v_fmamk_f32 v9, v16, 0x3d64c772, v71
	v_fmamk_f32 v16, v21, 0x3d64c772, v19
	v_fma_f32 v21, 0x3f3bfb3b, v18, -v77
	v_fma_f32 v18, 0xbf3bfb3b, v18, -v19
	v_fmamk_f32 v53, v10, 0xbeae86e6, v74
	v_fma_f32 v19, 0xbf5ff5aa, v11, -v74
	v_fmac_f32_e32 v78, 0x3eae86e6, v10
	v_fma_f32 v13, 0x3f3bfb3b, v15, -v73
	v_fma_f32 v15, 0xbf3bfb3b, v15, -v71
	;; [unrolled: 1-line block ×3, first 2 shown]
	v_fmac_f32_e32 v81, 0xbee1c552, v4
	v_fmac_f32_e32 v51, 0xbee1c552, v4
	;; [unrolled: 1-line block ×3, first 2 shown]
	v_fmamk_f32 v4, v17, 0xbf955555, v2
	v_fmamk_f32 v10, v20, 0xbf955555, v3
	v_fmac_f32_e32 v80, 0xbee1c552, v23
	v_add_f32_e32 v14, v55, v6
	v_add_f32_e32 v17, v67, v7
	v_fmac_f32_e32 v50, 0xbee1c552, v23
	v_fmac_f32_e32 v66, 0xbee1c552, v23
	;; [unrolled: 1-line block ×5, first 2 shown]
	v_add_f32_e32 v11, v54, v6
	v_add_f32_e32 v12, v12, v6
	;; [unrolled: 1-line block ×4, first 2 shown]
	v_fmac_f32_e32 v69, 0xbee1c552, v70
	v_fmac_f32_e32 v52, 0xbee1c552, v70
	;; [unrolled: 1-line block ×3, first 2 shown]
	v_add_f32_e32 v54, v9, v4
	v_add_f32_e32 v23, v13, v4
	;; [unrolled: 1-line block ×7, first 2 shown]
	v_sub_f32_e32 v5, v17, v80
	v_add_f32_e32 v6, v68, v12
	v_sub_f32_e32 v7, v20, v66
	v_sub_f32_e32 v8, v11, v51
	v_add_f32_e32 v9, v50, v22
	v_add_f32_e32 v10, v51, v11
	v_sub_f32_e32 v11, v22, v50
	v_sub_f32_e32 v12, v12, v68
	v_add_f32_e32 v13, v66, v20
	v_sub_f32_e32 v14, v14, v81
	v_add_f32_e32 v15, v80, v17
	;; [unrolled: 2-line block ×3, first 2 shown]
	v_add_f32_e32 v18, v52, v23
	v_sub_f32_e32 v19, v21, v19
	v_add_f32_e32 v20, v79, v55
	v_sub_f32_e32 v21, v70, v78
	v_sub_f32_e32 v22, v55, v79
	v_add_f32_e32 v23, v78, v70
	v_add_f32_e32 v50, v69, v54
	v_sub_f32_e32 v51, v67, v53
	v_sub_f32_e32 v52, v54, v69
	v_add_f32_e32 v53, v53, v67
	ds_write2_b64 v131, v[0:1], v[4:5] offset1:16
	ds_write2_b64 v131, v[6:7], v[8:9] offset0:32 offset1:48
	ds_write2_b64 v131, v[10:11], v[12:13] offset0:64 offset1:80
	ds_write_b64 v131, v[14:15] offset:768
	ds_write2_b64 v130, v[2:3], v[50:51] offset1:16
	ds_write2_b64 v130, v[20:21], v[16:17] offset0:32 offset1:48
	ds_write2_b64 v130, v[18:19], v[22:23] offset0:64 offset1:80
	ds_write_b64 v130, v[52:53] offset:768
	s_waitcnt lgkmcnt(0)
	s_barrier
	buffer_gl0_inv
	ds_read2_b64 v[8:11], v118 offset0:112 offset1:168
	ds_read2_b64 v[12:15], v120 offset0:96 offset1:152
	;; [unrolled: 1-line block ×6, first 2 shown]
	ds_read2_b64 v[70:73], v118 offset1:56
	v_add_co_u32 v0, vcc_lo, v62, s4
	v_add_co_ci_u32_e32 v1, vcc_lo, s5, v63, vcc_lo
	v_add_co_u32 v2, vcc_lo, v0, s7
	v_add_co_ci_u32_e32 v3, vcc_lo, s6, v1, vcc_lo
	;; [unrolled: 2-line block ×3, first 2 shown]
	s_waitcnt lgkmcnt(6)
	v_mul_f32_e32 v54, v25, v9
	v_mul_f32_e32 v25, v25, v8
	s_waitcnt lgkmcnt(5)
	v_mul_f32_e32 v55, v27, v13
	v_mul_f32_e32 v27, v27, v12
	s_waitcnt lgkmcnt(4)
	v_mul_f32_e32 v76, v33, v17
	v_mul_f32_e32 v33, v33, v16
	s_waitcnt lgkmcnt(2)
	v_mul_f32_e32 v80, v45, v51
	v_mul_f32_e32 v45, v45, v50
	s_waitcnt lgkmcnt(1)
	v_mul_f32_e32 v81, v47, v67
	v_mul_f32_e32 v47, v47, v66
	v_mul_f32_e32 v74, v29, v11
	v_mul_f32_e32 v29, v29, v10
	;; [unrolled: 1-line block ×14, first 2 shown]
	v_fmac_f32_e32 v54, v24, v8
	v_fma_f32 v8, v24, v9, -v25
	v_fmac_f32_e32 v55, v26, v12
	v_fma_f32 v9, v26, v13, -v27
	;; [unrolled: 2-line block ×12, first 2 shown]
	v_add_f32_e32 v20, v54, v81
	v_add_f32_e32 v21, v8, v17
	v_sub_f32_e32 v8, v8, v17
	v_add_f32_e32 v17, v55, v80
	v_add_f32_e32 v23, v9, v16
	v_sub_f32_e32 v22, v54, v81
	v_sub_f32_e32 v24, v55, v80
	;; [unrolled: 1-line block ×3, first 2 shown]
	v_add_f32_e32 v16, v76, v77
	v_add_f32_e32 v25, v12, v13
	v_sub_f32_e32 v26, v77, v76
	v_sub_f32_e32 v12, v13, v12
	v_add_f32_e32 v13, v74, v111
	v_add_f32_e32 v27, v10, v19
	v_sub_f32_e32 v10, v10, v19
	v_add_f32_e32 v19, v75, v110
	v_add_f32_e32 v29, v11, v18
	v_sub_f32_e32 v30, v75, v110
	v_sub_f32_e32 v11, v11, v18
	v_add_f32_e32 v18, v78, v79
	v_add_f32_e32 v31, v14, v15
	v_sub_f32_e32 v32, v79, v78
	;; [unrolled: 4-line block ×3, first 2 shown]
	v_sub_f32_e32 v34, v17, v20
	v_sub_f32_e32 v35, v23, v21
	;; [unrolled: 1-line block ×6, first 2 shown]
	v_add_f32_e32 v36, v19, v13
	v_add_f32_e32 v37, v29, v27
	;; [unrolled: 1-line block ×4, first 2 shown]
	v_sub_f32_e32 v40, v26, v24
	v_sub_f32_e32 v41, v12, v9
	;; [unrolled: 1-line block ×10, first 2 shown]
	v_add_f32_e32 v29, v32, v30
	v_add_f32_e32 v45, v14, v11
	v_sub_f32_e32 v47, v14, v11
	v_sub_f32_e32 v50, v11, v10
	v_add_f32_e32 v15, v16, v15
	v_add_f32_e32 v16, v25, v33
	v_sub_f32_e32 v46, v32, v30
	v_sub_f32_e32 v30, v30, v28
	;; [unrolled: 1-line block ×6, first 2 shown]
	v_add_f32_e32 v18, v18, v36
	v_add_f32_e32 v25, v31, v37
	v_add_f32_e32 v22, v38, v22
	v_add_f32_e32 v31, v39, v8
	v_mul_f32_e32 v20, 0x3f4a47b2, v20
	v_mul_f32_e32 v21, 0x3f4a47b2, v21
	v_add_f32_e32 v28, v29, v28
	v_mul_f32_e32 v29, 0x3d64c772, v17
	v_add_f32_e32 v33, v45, v10
	v_mul_f32_e32 v36, 0x3d64c772, v23
	v_mul_f32_e32 v37, 0x3f08b237, v40
	;; [unrolled: 1-line block ×9, first 2 shown]
	s_waitcnt lgkmcnt(0)
	v_add_f32_e32 v8, v70, v15
	v_add_f32_e32 v9, v71, v16
	v_mul_f32_e32 v46, 0x3f08b237, v46
	v_mul_f32_e32 v52, 0x3f5ff5aa, v30
	;; [unrolled: 1-line block ×4, first 2 shown]
	v_add_f32_e32 v10, v72, v18
	v_add_f32_e32 v11, v73, v25
	v_fmamk_f32 v17, v17, 0x3d64c772, v20
	v_fma_f32 v29, 0x3f3bfb3b, v34, -v29
	v_fma_f32 v20, 0xbf3bfb3b, v34, -v20
	v_fmamk_f32 v23, v23, 0x3d64c772, v21
	v_fma_f32 v34, 0x3f3bfb3b, v35, -v36
	v_fma_f32 v21, 0xbf3bfb3b, v35, -v21
	;; [unrolled: 1-line block ×3, first 2 shown]
	v_fmamk_f32 v35, v26, 0xbeae86e6, v37
	v_fmac_f32_e32 v39, 0x3eae86e6, v26
	v_fmamk_f32 v36, v12, 0xbeae86e6, v38
	v_fmac_f32_e32 v40, 0x3eae86e6, v12
	v_fmamk_f32 v12, v19, 0x3d64c772, v41
	v_fma_f32 v19, 0x3f3bfb3b, v43, -v45
	v_fma_f32 v37, 0xbf3bfb3b, v43, -v41
	v_fmamk_f32 v43, v14, 0xbeae86e6, v47
	v_fmac_f32_e32 v53, 0x3eae86e6, v14
	v_fmamk_f32 v14, v15, 0xbf955555, v8
	v_fmamk_f32 v15, v16, 0xbf955555, v9
	v_fma_f32 v26, 0xbf5ff5aa, v42, -v38
	v_fma_f32 v41, 0xbf5ff5aa, v30, -v46
	v_fmamk_f32 v42, v32, 0xbeae86e6, v46
	v_fmac_f32_e32 v52, 0x3eae86e6, v32
	v_fmamk_f32 v27, v27, 0x3d64c772, v13
	v_fma_f32 v38, 0x3f3bfb3b, v44, -v51
	v_fma_f32 v13, 0xbf3bfb3b, v44, -v13
	;; [unrolled: 1-line block ×3, first 2 shown]
	v_fmac_f32_e32 v35, 0xbee1c552, v22
	v_fmac_f32_e32 v36, 0xbee1c552, v31
	;; [unrolled: 1-line block ×4, first 2 shown]
	v_fmamk_f32 v16, v18, 0xbf955555, v10
	v_fmamk_f32 v18, v25, 0xbf955555, v11
	v_add_f32_e32 v22, v17, v14
	v_add_f32_e32 v23, v23, v15
	v_fmac_f32_e32 v40, 0xbee1c552, v31
	v_add_f32_e32 v20, v20, v14
	v_add_f32_e32 v21, v21, v15
	v_fmac_f32_e32 v26, 0xbee1c552, v31
	v_fmac_f32_e32 v42, 0xbee1c552, v28
	;; [unrolled: 1-line block ×4, first 2 shown]
	v_add_f32_e32 v25, v29, v14
	v_add_f32_e32 v28, v34, v15
	v_fmac_f32_e32 v43, 0xbee1c552, v33
	v_fmac_f32_e32 v30, 0xbee1c552, v33
	;; [unrolled: 1-line block ×3, first 2 shown]
	v_add_f32_e32 v34, v12, v16
	v_add_f32_e32 v44, v27, v18
	;; [unrolled: 1-line block ×7, first 2 shown]
	v_sub_f32_e32 v13, v23, v35
	v_add_f32_e32 v14, v40, v20
	v_sub_f32_e32 v15, v21, v39
	v_sub_f32_e32 v16, v25, v26
	v_add_f32_e32 v17, v24, v28
	v_add_f32_e32 v18, v26, v25
	v_sub_f32_e32 v19, v28, v24
	v_sub_f32_e32 v20, v20, v40
	v_add_f32_e32 v21, v39, v21
	v_sub_f32_e32 v22, v22, v36
	v_add_f32_e32 v23, v35, v23
	v_add_f32_e32 v24, v43, v34
	v_sub_f32_e32 v25, v44, v42
	v_add_f32_e32 v26, v53, v33
	v_sub_f32_e32 v27, v37, v52
	v_sub_f32_e32 v28, v31, v30
	v_add_f32_e32 v29, v41, v32
	v_add_f32_e32 v30, v30, v31
	v_sub_f32_e32 v31, v32, v41
	v_sub_f32_e32 v32, v33, v53
	v_add_f32_e32 v33, v52, v37
	v_sub_f32_e32 v34, v34, v43
	v_add_f32_e32 v35, v42, v44
	ds_write_b64 v118, v[12:13] offset:896
	ds_write_b64 v118, v[14:15] offset:1792
	;; [unrolled: 1-line block ×6, first 2 shown]
	ds_write2_b64 v118, v[8:9], v[10:11] offset1:56
	ds_write_b64 v118, v[24:25] offset:1344
	ds_write_b64 v118, v[26:27] offset:2240
	;; [unrolled: 1-line block ×6, first 2 shown]
	s_waitcnt lgkmcnt(0)
	s_barrier
	buffer_gl0_inv
	ds_read2_b64 v[8:11], v118 offset1:56
	ds_read2_b64 v[12:15], v121 offset0:80 offset1:136
	ds_read2_b64 v[16:19], v121 offset0:192 offset1:248
	;; [unrolled: 1-line block ×6, first 2 shown]
	v_add_co_u32 v6, vcc_lo, v4, s7
	v_add_co_ci_u32_e32 v7, vcc_lo, s6, v5, vcc_lo
	v_add_co_u32 v36, vcc_lo, v6, s4
	v_add_co_ci_u32_e32 v37, vcc_lo, s5, v7, vcc_lo
	;; [unrolled: 2-line block ×3, first 2 shown]
	s_waitcnt lgkmcnt(6)
	v_mul_f32_e32 v44, v89, v9
	v_mul_f32_e32 v45, v89, v8
	s_waitcnt lgkmcnt(5)
	v_mul_f32_e32 v46, v95, v15
	v_mul_f32_e32 v47, v95, v14
	;; [unrolled: 1-line block ×4, first 2 shown]
	s_waitcnt lgkmcnt(4)
	v_mul_f32_e32 v52, v93, v17
	v_mul_f32_e32 v53, v93, v16
	s_waitcnt lgkmcnt(3)
	v_mul_f32_e32 v54, v85, v21
	v_mul_f32_e32 v55, v85, v20
	;; [unrolled: 1-line block ×4, first 2 shown]
	v_fmac_f32_e32 v44, v88, v8
	v_fma_f32 v45, v88, v9, -v45
	v_mul_f32_e32 v68, v83, v23
	v_mul_f32_e32 v69, v83, v22
	s_waitcnt lgkmcnt(2)
	v_mul_f32_e32 v71, v103, v24
	s_waitcnt lgkmcnt(1)
	v_mul_f32_e32 v73, v91, v28
	v_mul_f32_e32 v75, v101, v26
	;; [unrolled: 1-line block ×3, first 2 shown]
	s_waitcnt lgkmcnt(0)
	v_mul_f32_e32 v79, v105, v32
	v_mul_f32_e32 v80, v107, v13
	;; [unrolled: 1-line block ×3, first 2 shown]
	v_fmac_f32_e32 v46, v94, v14
	v_fma_f32 v14, v94, v15, -v47
	v_mul_f32_e32 v70, v103, v25
	v_fmac_f32_e32 v50, v86, v10
	v_fma_f32 v51, v86, v11, -v51
	v_mul_f32_e32 v72, v91, v29
	;; [unrolled: 3-line block ×4, first 2 shown]
	v_fmac_f32_e32 v66, v96, v18
	v_fma_f32 v67, v96, v19, -v67
	v_cvt_f64_f32_e32 v[8:9], v44
	v_cvt_f64_f32_e32 v[10:11], v45
	v_mul_f32_e32 v78, v105, v33
	v_mul_f32_e32 v83, v109, v35
	v_mul_f32_e32 v85, v109, v34
	v_fmac_f32_e32 v68, v82, v22
	v_fma_f32 v55, v82, v23, -v69
	v_fma_f32 v69, v102, v25, -v71
	;; [unrolled: 1-line block ×6, first 2 shown]
	v_fmac_f32_e32 v80, v106, v12
	v_fma_f32 v79, v106, v13, -v81
	v_cvt_f64_f32_e32 v[12:13], v46
	v_cvt_f64_f32_e32 v[14:15], v14
	v_fmac_f32_e32 v70, v102, v24
	v_cvt_f64_f32_e32 v[16:17], v50
	v_cvt_f64_f32_e32 v[18:19], v51
	v_fmac_f32_e32 v72, v90, v28
	;; [unrolled: 3-line block ×5, first 2 shown]
	v_fmac_f32_e32 v83, v108, v34
	v_fma_f32 v82, v108, v35, -v85
	v_cvt_f64_f32_e32 v[32:33], v68
	v_cvt_f64_f32_e32 v[34:35], v55
	;; [unrolled: 1-line block ×16, first 2 shown]
	v_mul_f64 v[8:9], v[8:9], s[0:1]
	v_mul_f64 v[10:11], v[10:11], s[0:1]
	;; [unrolled: 1-line block ×28, first 2 shown]
	v_cvt_f32_f64_e32 v8, v[8:9]
	v_cvt_f32_f64_e32 v9, v[10:11]
	;; [unrolled: 1-line block ×18, first 2 shown]
	v_add_co_u32 v40, vcc_lo, v38, s4
	v_cvt_f32_f64_e32 v26, v[54:55]
	v_cvt_f32_f64_e32 v27, v[66:67]
	;; [unrolled: 1-line block ×4, first 2 shown]
	v_add_co_ci_u32_e32 v41, vcc_lo, s5, v39, vcc_lo
	v_cvt_f32_f64_e32 v30, v[72:73]
	v_cvt_f32_f64_e32 v31, v[74:75]
	;; [unrolled: 1-line block ×6, first 2 shown]
	v_add_co_u32 v42, vcc_lo, v40, s7
	v_add_co_ci_u32_e32 v43, vcc_lo, s6, v41, vcc_lo
	v_add_co_u32 v44, vcc_lo, v64, v48
	v_add_co_ci_u32_e32 v45, vcc_lo, v65, v49, vcc_lo
	;; [unrolled: 2-line block ×3, first 2 shown]
	global_store_dwordx2 v[56:57], v[8:9], off
	global_store_dwordx2 v[58:59], v[10:11], off
	global_store_dwordx2 v[60:61], v[12:13], off
	global_store_dwordx2 v[44:45], v[14:15], off
	global_store_dwordx2 v[62:63], v[16:17], off
	global_store_dwordx2 v[0:1], v[18:19], off
	global_store_dwordx2 v[2:3], v[20:21], off
	global_store_dwordx2 v[4:5], v[22:23], off
	global_store_dwordx2 v[6:7], v[24:25], off
	global_store_dwordx2 v[36:37], v[26:27], off
	global_store_dwordx2 v[38:39], v[28:29], off
	global_store_dwordx2 v[40:41], v[30:31], off
	global_store_dwordx2 v[42:43], v[32:33], off
	global_store_dwordx2 v[46:47], v[34:35], off
.LBB0_2:
	s_endpgm
	.section	.rodata,"a",@progbits
	.p2align	6, 0x0
	.amdhsa_kernel bluestein_single_back_len784_dim1_sp_op_CI_CI
		.amdhsa_group_segment_fixed_size 6272
		.amdhsa_private_segment_fixed_size 0
		.amdhsa_kernarg_size 104
		.amdhsa_user_sgpr_count 6
		.amdhsa_user_sgpr_private_segment_buffer 1
		.amdhsa_user_sgpr_dispatch_ptr 0
		.amdhsa_user_sgpr_queue_ptr 0
		.amdhsa_user_sgpr_kernarg_segment_ptr 1
		.amdhsa_user_sgpr_dispatch_id 0
		.amdhsa_user_sgpr_flat_scratch_init 0
		.amdhsa_user_sgpr_private_segment_size 0
		.amdhsa_wavefront_size32 1
		.amdhsa_uses_dynamic_stack 0
		.amdhsa_system_sgpr_private_segment_wavefront_offset 0
		.amdhsa_system_sgpr_workgroup_id_x 1
		.amdhsa_system_sgpr_workgroup_id_y 0
		.amdhsa_system_sgpr_workgroup_id_z 0
		.amdhsa_system_sgpr_workgroup_info 0
		.amdhsa_system_vgpr_workitem_id 0
		.amdhsa_next_free_vgpr 158
		.amdhsa_next_free_sgpr 20
		.amdhsa_reserve_vcc 1
		.amdhsa_reserve_flat_scratch 0
		.amdhsa_float_round_mode_32 0
		.amdhsa_float_round_mode_16_64 0
		.amdhsa_float_denorm_mode_32 3
		.amdhsa_float_denorm_mode_16_64 3
		.amdhsa_dx10_clamp 1
		.amdhsa_ieee_mode 1
		.amdhsa_fp16_overflow 0
		.amdhsa_workgroup_processor_mode 1
		.amdhsa_memory_ordered 1
		.amdhsa_forward_progress 0
		.amdhsa_shared_vgpr_count 0
		.amdhsa_exception_fp_ieee_invalid_op 0
		.amdhsa_exception_fp_denorm_src 0
		.amdhsa_exception_fp_ieee_div_zero 0
		.amdhsa_exception_fp_ieee_overflow 0
		.amdhsa_exception_fp_ieee_underflow 0
		.amdhsa_exception_fp_ieee_inexact 0
		.amdhsa_exception_int_div_zero 0
	.end_amdhsa_kernel
	.text
.Lfunc_end0:
	.size	bluestein_single_back_len784_dim1_sp_op_CI_CI, .Lfunc_end0-bluestein_single_back_len784_dim1_sp_op_CI_CI
                                        ; -- End function
	.section	.AMDGPU.csdata,"",@progbits
; Kernel info:
; codeLenInByte = 12472
; NumSgprs: 22
; NumVgprs: 158
; ScratchSize: 0
; MemoryBound: 0
; FloatMode: 240
; IeeeMode: 1
; LDSByteSize: 6272 bytes/workgroup (compile time only)
; SGPRBlocks: 2
; VGPRBlocks: 19
; NumSGPRsForWavesPerEU: 22
; NumVGPRsForWavesPerEU: 158
; Occupancy: 6
; WaveLimiterHint : 1
; COMPUTE_PGM_RSRC2:SCRATCH_EN: 0
; COMPUTE_PGM_RSRC2:USER_SGPR: 6
; COMPUTE_PGM_RSRC2:TRAP_HANDLER: 0
; COMPUTE_PGM_RSRC2:TGID_X_EN: 1
; COMPUTE_PGM_RSRC2:TGID_Y_EN: 0
; COMPUTE_PGM_RSRC2:TGID_Z_EN: 0
; COMPUTE_PGM_RSRC2:TIDIG_COMP_CNT: 0
	.text
	.p2alignl 6, 3214868480
	.fill 48, 4, 3214868480
	.type	__hip_cuid_a325a0fb867af8c9,@object ; @__hip_cuid_a325a0fb867af8c9
	.section	.bss,"aw",@nobits
	.globl	__hip_cuid_a325a0fb867af8c9
__hip_cuid_a325a0fb867af8c9:
	.byte	0                               ; 0x0
	.size	__hip_cuid_a325a0fb867af8c9, 1

	.ident	"AMD clang version 19.0.0git (https://github.com/RadeonOpenCompute/llvm-project roc-6.4.0 25133 c7fe45cf4b819c5991fe208aaa96edf142730f1d)"
	.section	".note.GNU-stack","",@progbits
	.addrsig
	.addrsig_sym __hip_cuid_a325a0fb867af8c9
	.amdgpu_metadata
---
amdhsa.kernels:
  - .args:
      - .actual_access:  read_only
        .address_space:  global
        .offset:         0
        .size:           8
        .value_kind:     global_buffer
      - .actual_access:  read_only
        .address_space:  global
        .offset:         8
        .size:           8
        .value_kind:     global_buffer
      - .actual_access:  read_only
        .address_space:  global
        .offset:         16
        .size:           8
        .value_kind:     global_buffer
      - .actual_access:  read_only
        .address_space:  global
        .offset:         24
        .size:           8
        .value_kind:     global_buffer
      - .actual_access:  read_only
        .address_space:  global
        .offset:         32
        .size:           8
        .value_kind:     global_buffer
      - .offset:         40
        .size:           8
        .value_kind:     by_value
      - .address_space:  global
        .offset:         48
        .size:           8
        .value_kind:     global_buffer
      - .address_space:  global
        .offset:         56
        .size:           8
        .value_kind:     global_buffer
      - .address_space:  global
        .offset:         64
        .size:           8
        .value_kind:     global_buffer
      - .address_space:  global
        .offset:         72
        .size:           8
        .value_kind:     global_buffer
      - .offset:         80
        .size:           4
        .value_kind:     by_value
      - .address_space:  global
        .offset:         88
        .size:           8
        .value_kind:     global_buffer
      - .address_space:  global
        .offset:         96
        .size:           8
        .value_kind:     global_buffer
    .group_segment_fixed_size: 6272
    .kernarg_segment_align: 8
    .kernarg_segment_size: 104
    .language:       OpenCL C
    .language_version:
      - 2
      - 0
    .max_flat_workgroup_size: 56
    .name:           bluestein_single_back_len784_dim1_sp_op_CI_CI
    .private_segment_fixed_size: 0
    .sgpr_count:     22
    .sgpr_spill_count: 0
    .symbol:         bluestein_single_back_len784_dim1_sp_op_CI_CI.kd
    .uniform_work_group_size: 1
    .uses_dynamic_stack: false
    .vgpr_count:     158
    .vgpr_spill_count: 0
    .wavefront_size: 32
    .workgroup_processor_mode: 1
amdhsa.target:   amdgcn-amd-amdhsa--gfx1030
amdhsa.version:
  - 1
  - 2
...

	.end_amdgpu_metadata
